;; amdgpu-corpus repo=ROCm/rocm-libraries kind=compiled arch=gfx1100 opt=O3
	.text
	.amdgcn_target "amdgcn-amd-amdhsa--gfx1100"
	.amdhsa_code_object_version 6
	.protected	miopen_conv3d_depthwise_fwd ; -- Begin function miopen_conv3d_depthwise_fwd
	.globl	miopen_conv3d_depthwise_fwd
	.p2align	8
	.type	miopen_conv3d_depthwise_fwd,@function
miopen_conv3d_depthwise_fwd:            ; @miopen_conv3d_depthwise_fwd
; %bb.0:
	s_load_b256 s[4:11], s[0:1], 0x20
	s_mov_b32 s2, s15
	s_mov_b32 s29, -1
	s_waitcnt lgkmcnt(0)
	s_abs_i32 s3, s4
	s_abs_i32 s16, s8
	v_cvt_f32_u32_e32 v1, s3
	s_sub_i32 s15, 0, s3
	s_delay_alu instid0(VALU_DEP_1) | instskip(SKIP_2) | instid1(VALU_DEP_1)
	v_rcp_iflag_f32_e32 v1, v1
	s_waitcnt_depctr 0xfff
	v_mul_f32_e32 v1, 0x4f7ffffe, v1
	v_cvt_u32_f32_e32 v1, v1
	s_delay_alu instid0(VALU_DEP_1) | instskip(NEXT) | instid1(VALU_DEP_1)
	v_readfirstlane_b32 s12, v1
	s_mul_i32 s15, s15, s12
	s_delay_alu instid0(SALU_CYCLE_1) | instskip(NEXT) | instid1(SALU_CYCLE_1)
	s_mul_hi_u32 s15, s12, s15
	s_add_i32 s12, s12, s15
	s_xor_b32 s15, s8, s4
	s_mul_hi_u32 s12, s16, s12
	s_ashr_i32 s15, s15, 31
	s_mul_i32 s17, s12, s3
	s_delay_alu instid0(SALU_CYCLE_1)
	s_sub_i32 s16, s16, s17
	s_add_i32 s17, s12, 1
	s_sub_i32 s18, s16, s3
	s_cmp_ge_u32 s16, s3
	s_cselect_b32 s12, s17, s12
	s_cselect_b32 s16, s18, s16
	s_add_i32 s17, s12, 1
	s_cmp_ge_u32 s16, s3
	s_cselect_b32 s3, s17, s12
	s_abs_i32 s27, s14
	s_xor_b32 s3, s3, s15
	s_delay_alu instid0(SALU_CYCLE_1) | instskip(SKIP_2) | instid1(SALU_CYCLE_1)
	s_sub_i32 s26, s3, s15
	s_load_b32 s3, s[0:1], 0x4c
	s_abs_i32 s12, s26
	v_cvt_f32_u32_e32 v1, s12
	s_sub_i32 s15, 0, s12
	s_delay_alu instid0(VALU_DEP_1) | instskip(SKIP_2) | instid1(VALU_DEP_1)
	v_rcp_iflag_f32_e32 v1, v1
	s_waitcnt_depctr 0xfff
	v_mul_f32_e32 v1, 0x4f7ffffe, v1
	v_cvt_u32_f32_e32 v1, v1
	s_delay_alu instid0(VALU_DEP_1) | instskip(NEXT) | instid1(VALU_DEP_1)
	v_readfirstlane_b32 s28, v1
	s_mul_i32 s15, s15, s28
	s_delay_alu instid0(SALU_CYCLE_1) | instskip(NEXT) | instid1(SALU_CYCLE_1)
	s_mul_hi_u32 s15, s28, s15
	s_add_i32 s28, s28, s15
	s_add_u32 s24, s0, 64
	s_addc_u32 s25, s1, 0
	s_waitcnt lgkmcnt(0)
	s_and_b32 s15, s3, 0xffff
	s_delay_alu instid0(SALU_CYCLE_1)
	v_cvt_f32_u32_e32 v1, s15
	s_cmp_eq_u32 s15, 1
	v_add_nc_u32_e32 v3, s15, v0
	s_cselect_b32 s16, -1, 0
	s_sub_i32 s3, 0, s15
	v_rcp_iflag_f32_e32 v1, v1
	s_delay_alu instid0(VALU_DEP_1) | instskip(SKIP_3) | instid1(VALU_DEP_1)
	v_cmp_gt_u32_e32 vcc_lo, 0x303c, v3
	v_max_u32_e32 v4, 0x303c, v3
	s_waitcnt_depctr 0xfff
	v_mul_f32_e32 v1, 0x4f7ffffe, v1
	v_cvt_u32_f32_e32 v1, v1
	s_delay_alu instid0(VALU_DEP_1) | instskip(SKIP_1) | instid1(VALU_DEP_1)
	v_mul_lo_u32 v2, s3, v1
	v_add_co_ci_u32_e64 v3, s3, s15, v0, vcc_lo
	v_sub_nc_u32_e32 v3, v4, v3
	s_delay_alu instid0(VALU_DEP_3) | instskip(NEXT) | instid1(VALU_DEP_1)
	v_mul_hi_u32 v2, v1, v2
	v_add_nc_u32_e32 v1, v1, v2
	s_delay_alu instid0(VALU_DEP_1) | instskip(NEXT) | instid1(VALU_DEP_1)
	v_mul_hi_u32 v1, v3, v1
	v_mul_lo_u32 v2, v1, s15
	s_delay_alu instid0(VALU_DEP_1) | instskip(SKIP_1) | instid1(VALU_DEP_2)
	v_sub_nc_u32_e32 v2, v3, v2
	v_add_nc_u32_e32 v3, 1, v1
	v_subrev_nc_u32_e32 v4, s15, v2
	v_cmp_le_u32_e64 s3, s15, v2
	s_delay_alu instid0(VALU_DEP_1) | instskip(NEXT) | instid1(VALU_DEP_3)
	v_cndmask_b32_e64 v1, v1, v3, s3
	v_cndmask_b32_e64 v2, v2, v4, s3
	s_delay_alu instid0(VALU_DEP_2) | instskip(NEXT) | instid1(VALU_DEP_2)
	v_add_nc_u32_e32 v3, 1, v1
	v_cmp_le_u32_e64 s3, s15, v2
	s_delay_alu instid0(VALU_DEP_1) | instskip(SKIP_1) | instid1(VALU_DEP_2)
	v_cndmask_b32_e64 v2, v1, v3, s3
	v_mov_b32_e32 v1, v0
	v_add_co_ci_u32_e64 v8, s3, 1, v2, vcc_lo
	s_delay_alu instid0(VALU_DEP_1) | instskip(NEXT) | instid1(VALU_DEP_1)
	v_cmp_lt_u32_e64 s3, 1, v8
	s_and_b32 s16, s3, s16
	s_delay_alu instid0(SALU_CYCLE_1)
	s_and_saveexec_b32 s3, s16
	s_cbranch_execz .LBB0_9
; %bb.1:
	v_add_co_ci_u32_e32 v1, vcc_lo, 0, v2, vcc_lo
	s_mov_b32 s16, exec_lo
	s_delay_alu instid0(VALU_DEP_1) | instskip(NEXT) | instid1(VALU_DEP_1)
	v_dual_mov_b32 v12, 0 :: v_dual_add_nc_u32 v1, -1, v1
	v_lshrrev_b32_e32 v2, 1, v1
	s_delay_alu instid0(VALU_DEP_1)
	v_add_nc_u32_e32 v9, 1, v2
	v_cmpx_lt_u32_e32 13, v1
	s_cbranch_execz .LBB0_5
; %bb.2:
	s_delay_alu instid0(VALU_DEP_2) | instskip(SKIP_3) | instid1(VALU_DEP_2)
	v_dual_mov_b32 v1, 0 :: v_dual_and_b32 v10, -8, v9
	v_lshlrev_b32_e32 v11, 1, v0
	s_mov_b32 s17, 0
	s_mov_b32 s18, 0
	v_mov_b32_e32 v2, v1
	v_mov_b32_e32 v3, v1
	;; [unrolled: 1-line block ×6, first 2 shown]
.LBB0_3:                                ; =>This Inner Loop Header: Depth=1
	v_add_nc_u32_e32 v10, -8, v10
	s_add_i32 s18, s18, 16
	ds_store_b128 v11, v[1:4]
	ds_store_b96 v11, v[5:7] offset:16
	ds_store_b32 v11, v1 offset:28
	v_dual_mov_b32 v12, s18 :: v_dual_add_nc_u32 v11, 32, v11
	v_cmp_eq_u32_e32 vcc_lo, 0, v10
	s_or_b32 s17, vcc_lo, s17
	s_delay_alu instid0(SALU_CYCLE_1)
	s_and_not1_b32 exec_lo, exec_lo, s17
	s_cbranch_execnz .LBB0_3
; %bb.4:
	s_or_b32 exec_lo, exec_lo, s17
.LBB0_5:
	s_delay_alu instid0(SALU_CYCLE_1) | instskip(NEXT) | instid1(VALU_DEP_2)
	s_or_b32 exec_lo, exec_lo, s16
	v_and_b32_e32 v1, 7, v9
	s_mov_b32 s17, 0
	s_mov_b32 s16, exec_lo
	s_delay_alu instid0(VALU_DEP_1)
	v_cmpx_ne_u32_e32 0, v1
	s_cbranch_execz .LBB0_8
; %bb.6:
	v_add_lshl_u32 v2, v0, v12, 1
	v_mov_b32_e32 v3, 0
.LBB0_7:                                ; =>This Inner Loop Header: Depth=1
	v_add_nc_u32_e32 v1, -1, v1
	ds_store_b32 v2, v3
	v_add_nc_u32_e32 v2, 4, v2
	v_cmp_eq_u32_e32 vcc_lo, 0, v1
	s_or_b32 s17, vcc_lo, s17
	s_delay_alu instid0(SALU_CYCLE_1)
	s_and_not1_b32 exec_lo, exec_lo, s17
	s_cbranch_execnz .LBB0_7
.LBB0_8:
	s_or_b32 exec_lo, exec_lo, s16
	v_and_b32_e32 v1, -2, v8
	s_delay_alu instid0(VALU_DEP_1)
	v_cmp_ne_u32_e32 vcc_lo, v8, v1
	v_add_nc_u32_e32 v1, v0, v1
	s_or_not1_b32 s29, vcc_lo, exec_lo
.LBB0_9:
	s_or_b32 exec_lo, exec_lo, s3
	s_load_b256 s[16:23], s[0:1], 0x0
	s_mul_hi_u32 s0, s27, s28
	s_and_saveexec_b32 s1, s29
	s_cbranch_execz .LBB0_12
; %bb.10:
	v_dual_mov_b32 v3, 0 :: v_dual_lshlrev_b32 v2, 1, v1
	s_lshl_b32 s3, s15, 1
	s_mov_b32 s28, 0
.LBB0_11:                               ; =>This Inner Loop Header: Depth=1
	v_add_nc_u32_e32 v1, s15, v1
	ds_store_b16 v2, v3
	v_add_nc_u32_e32 v2, s3, v2
	v_cmp_lt_u32_e32 vcc_lo, 0x303b, v1
	s_or_b32 s28, vcc_lo, s28
	s_delay_alu instid0(SALU_CYCLE_1)
	s_and_not1_b32 exec_lo, exec_lo, s28
	s_cbranch_execnz .LBB0_11
.LBB0_12:
	s_or_b32 exec_lo, exec_lo, s1
	v_lshrrev_b32_e32 v1, 6, v0
	s_ashr_i32 s15, s14, 31
	s_ashr_i32 s1, s26, 31
	s_waitcnt lgkmcnt(0)
	s_barrier
	v_readfirstlane_b32 s3, v1
	buffer_gl0_inv
	s_cmp_lt_i32 s3, 45
	s_cbranch_scc0 .LBB0_25
; %bb.13:
	s_mul_i32 s26, s0, s12
	s_xor_b32 s1, s15, s1
	s_sub_i32 s26, s27, s26
	s_add_i32 s27, s0, 1
	s_sub_i32 s28, s26, s12
	s_cmp_ge_u32 s26, s12
	s_mul_i32 s4, s13, s4
	s_cselect_b32 s0, s27, s0
	s_cselect_b32 s26, s28, s26
	s_add_i32 s27, s0, 1
	s_cmp_ge_u32 s26, s12
	v_and_b32_e32 v1, 63, v0
	s_cselect_b32 s0, s27, s0
	s_mul_i32 s12, s3, 0xa8
	s_xor_b32 s0, s0, s1
	s_delay_alu instid0(VALU_DEP_1)
	v_lshlrev_b32_e32 v2, 2, v1
	s_sub_i32 s0, s0, s1
	s_mul_i32 s1, s7, s6
	s_add_i32 s0, s0, s4
	s_mul_i32 s4, s3, s7
	s_mul_i32 s0, s0, s5
	v_cmp_gt_u32_e32 vcc_lo, 40, v1
	s_add_i32 s0, s0, s2
	v_lshl_add_u32 v3, s4, 1, v2
	s_mul_i32 s0, s1, s0
	s_delay_alu instid0(SALU_CYCLE_1) | instskip(NEXT) | instid1(SALU_CYCLE_1)
	s_ashr_i32 s1, s0, 31
	s_lshl_b64 s[0:1], s[0:1], 1
	s_delay_alu instid0(SALU_CYCLE_1)
	s_add_u32 s0, s16, s0
	s_addc_u32 s1, s17, s1
	s_add_i32 s5, s3, -4
	s_lshl_b32 s4, s7, 3
	s_add_i32 s16, s12, 0x154
	s_mov_b32 s17, s5
	s_set_inst_prefetch_distance 0x1
	s_branch .LBB0_15
	.p2align	6
.LBB0_14:                               ;   in Loop: Header=BB0_15 Depth=1
	s_or_b32 exec_lo, exec_lo, s26
	v_add_nc_u32_e32 v3, s4, v3
	s_add_i32 s17, s17, 4
	s_addk_i32 s16, 0x2a0
	s_cmp_gt_i32 s17, 40
	s_cbranch_scc1 .LBB0_17
.LBB0_15:                               ; =>This Inner Loop Header: Depth=1
	s_and_saveexec_b32 s26, vcc_lo
	s_cbranch_execz .LBB0_14
; %bb.16:                               ;   in Loop: Header=BB0_15 Depth=1
	v_readfirstlane_b32 s27, v1
	s_delay_alu instid0(VALU_DEP_1) | instskip(NEXT) | instid1(SALU_CYCLE_1)
	s_lshl_b32 s27, s27, 2
	s_add_i32 s27, s16, s27
	;;#ASMSTART
	s_mov_b32 m0, s27
	s_nop 1

	;;#ASMEND
	;;#ASMSTART
	global_load_lds_dword v3, s[0:1] offset:0
	;;#ASMEND
	s_branch .LBB0_14
.LBB0_17:
	s_set_inst_prefetch_distance 0x2
	s_add_i32 s16, s3, s6
	s_mov_b32 s17, s5
	s_mul_i32 s16, s7, s16
	s_delay_alu instid0(SALU_CYCLE_1)
	v_lshl_add_u32 v3, s16, 1, v2
	s_add_i32 s16, s12, 0x217c
	s_set_inst_prefetch_distance 0x1
	s_branch .LBB0_19
	.p2align	6
.LBB0_18:                               ;   in Loop: Header=BB0_19 Depth=1
	s_or_b32 exec_lo, exec_lo, s26
	v_add_nc_u32_e32 v3, s4, v3
	s_add_i32 s17, s17, 4
	s_addk_i32 s16, 0x2a0
	s_cmp_lt_i32 s17, 41
	s_cbranch_scc0 .LBB0_21
.LBB0_19:                               ; =>This Inner Loop Header: Depth=1
	s_and_saveexec_b32 s26, vcc_lo
	s_cbranch_execz .LBB0_18
; %bb.20:                               ;   in Loop: Header=BB0_19 Depth=1
	v_readfirstlane_b32 s27, v1
	s_delay_alu instid0(VALU_DEP_1) | instskip(NEXT) | instid1(SALU_CYCLE_1)
	s_lshl_b32 s27, s27, 2
	s_add_i32 s27, s16, s27
	;;#ASMSTART
	s_mov_b32 m0, s27
	s_nop 1

	;;#ASMEND
	;;#ASMSTART
	global_load_lds_dword v3, s[0:1] offset:0
	;;#ASMEND
	s_branch .LBB0_18
.LBB0_21:
	s_set_inst_prefetch_distance 0x2
	s_lshl_b32 s6, s6, 1
	s_delay_alu instid0(SALU_CYCLE_1) | instskip(NEXT) | instid1(SALU_CYCLE_1)
	s_add_i32 s3, s3, s6
	s_mul_i32 s3, s7, s3
	s_delay_alu instid0(SALU_CYCLE_1)
	v_lshl_add_u32 v2, s3, 1, v2
	s_add_i32 s3, s12, 0x41a4
	s_set_inst_prefetch_distance 0x1
	s_branch .LBB0_23
	.p2align	6
.LBB0_22:                               ;   in Loop: Header=BB0_23 Depth=1
	s_or_b32 exec_lo, exec_lo, s6
	v_add_nc_u32_e32 v2, s4, v2
	s_add_i32 s5, s5, 4
	s_addk_i32 s3, 0x2a0
	s_cmp_lt_i32 s5, 41
	s_cbranch_scc0 .LBB0_25
.LBB0_23:                               ; =>This Inner Loop Header: Depth=1
	s_and_saveexec_b32 s6, vcc_lo
	s_cbranch_execz .LBB0_22
; %bb.24:                               ;   in Loop: Header=BB0_23 Depth=1
	v_readfirstlane_b32 s7, v1
	s_delay_alu instid0(VALU_DEP_1) | instskip(NEXT) | instid1(SALU_CYCLE_1)
	s_lshl_b32 s7, s7, 2
	s_add_i32 s7, s3, s7
	;;#ASMSTART
	s_mov_b32 m0, s7
	s_nop 1

	;;#ASMEND
	;;#ASMSTART
	global_load_lds_dword v2, s[0:1] offset:0
	;;#ASMEND
	s_branch .LBB0_22
.LBB0_25:
	s_set_inst_prefetch_distance 0x2
	s_mul_i32 s0, s14, 0x4b
	v_mov_b32_e32 v37, 0
	s_ashr_i32 s1, s0, 31
	s_delay_alu instid0(SALU_CYCLE_1) | instskip(NEXT) | instid1(SALU_CYCLE_1)
	s_lshl_b64 s[0:1], s[0:1], 1
	s_add_u32 s0, s20, s0
	s_addc_u32 s1, s21, s1
	s_cmp_lg_u64 s[22:23], 0
	s_clause 0xa
	global_load_b128 v[33:36], v37, s[0:1]
	global_load_b128 v[29:32], v37, s[0:1] offset:16
	global_load_b128 v[25:28], v37, s[0:1] offset:32
	global_load_b128 v[21:24], v37, s[0:1] offset:48
	global_load_b128 v[17:20], v37, s[0:1] offset:64
	global_load_b128 v[13:16], v37, s[0:1] offset:80
	global_load_b128 v[9:12], v37, s[0:1] offset:96
	global_load_b128 v[5:8], v37, s[0:1] offset:112
	global_load_b128 v[1:4], v37, s[0:1] offset:128
	global_load_d16_b16 v77, v37, s[0:1] offset:148
	global_load_b32 v76, v37, s[0:1] offset:144
	s_cbranch_scc0 .LBB0_27
; %bb.26:
	s_lshl_b64 s[0:1], s[14:15], 1
	v_mov_b32_e32 v37, 0
	s_add_u32 s0, s22, s0
	s_addc_u32 s1, s23, s1
	global_load_u16 v37, v37, s[0:1]
	s_waitcnt vmcnt(0)
	v_lshlrev_b32_e32 v37, 16, v37
.LBB0_27:
	s_mul_i32 s0, s13, s8
	s_mul_i32 s1, s11, s10
	s_add_i32 s0, s0, s14
	s_waitcnt vmcnt(10)
	v_lshlrev_b32_e32 v38, 16, v33
	s_mul_i32 s3, s0, s9
	v_bfi_b32 v33, 0xffff, 0, v33
	s_add_i32 s3, s3, s2
	v_lshlrev_b32_e32 v39, 16, v34
	s_mul_i32 s2, s1, s3
	v_bfi_b32 v34, 0xffff, 0, v34
	s_ashr_i32 s3, s2, 31
	v_lshlrev_b32_e32 v40, 16, v35
	v_bfi_b32 v35, 0xffff, 0, v35
	v_lshlrev_b32_e32 v41, 16, v36
	v_bfi_b32 v36, 0xffff, 0, v36
	s_waitcnt vmcnt(9)
	v_lshlrev_b32_e32 v42, 16, v29
	v_bfi_b32 v29, 0xffff, 0, v29
	v_lshlrev_b32_e32 v43, 16, v30
	v_bfi_b32 v30, 0xffff, 0, v30
	v_lshlrev_b32_e32 v44, 16, v31
	v_bfi_b32 v31, 0xffff, 0, v31
	v_lshlrev_b32_e32 v45, 16, v32
	v_bfi_b32 v32, 0xffff, 0, v32
	s_waitcnt vmcnt(8)
	v_lshlrev_b32_e32 v46, 16, v25
	v_bfi_b32 v25, 0xffff, 0, v25
	v_lshlrev_b32_e32 v47, 16, v26
	v_bfi_b32 v26, 0xffff, 0, v26
	;; [unrolled: 9-line block ×8, first 2 shown]
	v_lshlrev_b32_e32 v73, 16, v3
	v_bfi_b32 v3, 0xffff, 0, v3
	v_lshlrev_b32_e32 v74, 16, v4
	v_bfi_b32 v4, 0xffff, 0, v4
	s_waitcnt vmcnt(0)
	v_lshlrev_b32_e32 v75, 16, v76
	v_bfi_b32 v76, 0xffff, 0, v76
	s_lshl_b64 s[2:3], s[2:3], 1
	v_lshlrev_b32_e32 v77, 16, v77
	v_lshlrev_b32_e32 v78, 1, v0
	s_add_u32 s1, s18, s2
	;;#ASMSTART
	s_waitcnt vmcnt(0)

	;;#ASMEND
	s_mov_b32 s0, 0
	s_addc_u32 s2, s19, s3
	s_barrier
	buffer_gl0_inv
	s_branch .LBB0_29
.LBB0_28:                               ;   in Loop: Header=BB0_29 Depth=1
	s_or_b32 exec_lo, exec_lo, s3
	s_load_b32 s3, s[24:25], 0xc
	global_store_d16_hi_b16 v[0:1], v79, off offset:2
	s_waitcnt lgkmcnt(0)
	s_and_b32 s3, s3, 0xffff
	s_delay_alu instid0(SALU_CYCLE_1) | instskip(NEXT) | instid1(VALU_DEP_1)
	v_lshl_add_u32 v78, s3, 1, v78
	v_cmp_lt_u32_e32 vcc_lo, 0xe0f, v78
	s_or_b32 s0, vcc_lo, s0
	s_delay_alu instid0(SALU_CYCLE_1)
	s_and_not1_b32 exec_lo, exec_lo, s0
	s_cbranch_execz .LBB0_37
.LBB0_29:                               ; =>This Inner Loop Header: Depth=1
	v_and_b32_e32 v0, 0xffff, v78
	s_delay_alu instid0(VALU_DEP_1) | instskip(NEXT) | instid1(VALU_DEP_1)
	v_mul_u32_u24_e32 v0, 0xcccd, v0
	v_lshrrev_b32_e32 v147, 22, v0
	s_delay_alu instid0(VALU_DEP_1) | instskip(NEXT) | instid1(VALU_DEP_1)
	v_mul_lo_u16 v0, 0x50, v147
	v_sub_nc_u16 v0, v78, v0
	s_delay_alu instid0(VALU_DEP_1) | instskip(NEXT) | instid1(VALU_DEP_1)
	v_and_b32_e32 v0, 0xffff, v0
	v_lshlrev_b32_e32 v1, 1, v0
	s_delay_alu instid0(VALU_DEP_1)
	v_mad_u32_u24 v79, 0xa8, v147, v1
	;;#ASMSTART
	ds_read_b32 v81, v79 offset:0
	;;#ASMEND
	;;#ASMSTART
	ds_read_b32 v83, v79 offset:4
	;;#ASMEND
	;; [unrolled: 3-line block ×45, first 2 shown]
	;;#ASMSTART
	s_waitcnt lgkmcnt(0)

	;;#ASMEND
	; sched_barrier mask(0x00000000)
	v_dual_mov_b32 v154, v37 :: v_dual_lshlrev_b32 v87, 16, v81
	;;#ASMSTART
	v_fmac_f32 v154, v38, v87
	;;#ASMEND
	v_and_b32_e32 v81, 0xffff0000, v81
	;;#ASMSTART
	v_fmac_f32 v154, v33, v81
	;;#ASMEND
	v_lshlrev_b32_e32 v82, 16, v83
	;;#ASMSTART
	v_fmac_f32 v154, v39, v82
	;;#ASMEND
	v_and_b32_e32 v83, 0xffff0000, v83
	;;#ASMSTART
	v_fmac_f32 v154, v34, v83
	;;#ASMEND
	v_lshlrev_b32_e32 v84, 16, v141
	;;#ASMSTART
	v_fmac_f32 v154, v40, v84
	;;#ASMEND
	v_lshlrev_b32_e32 v92, 16, v86
	;;#ASMSTART
	v_fmac_f32 v154, v35, v92
	;;#ASMEND
	v_and_b32_e32 v86, 0xffff0000, v86
	;;#ASMSTART
	v_fmac_f32 v154, v41, v86
	;;#ASMEND
	v_lshlrev_b32_e32 v87, 16, v88
	;;#ASMSTART
	v_fmac_f32 v154, v36, v87
	;;#ASMEND
	v_and_b32_e32 v88, 0xffff0000, v88
	;;#ASMSTART
	v_fmac_f32 v154, v42, v88
	;;#ASMEND
	v_lshlrev_b32_e32 v90, 16, v136
	;;#ASMSTART
	v_fmac_f32 v154, v29, v90
	;;#ASMEND
	v_lshlrev_b32_e32 v97, 16, v91
	;; [unrolled: 20-line block ×14, first 2 shown]
	;;#ASMSTART
	v_fmac_f32 v154, v74, v155
	;;#ASMEND
	v_and_b32_e32 v145, 0xffff0000, v150
	;;#ASMSTART
	v_fmac_f32 v154, v4, v145
	;;#ASMEND
	v_lshlrev_b32_e32 v148, 16, v152
	;;#ASMSTART
	v_fmac_f32 v154, v75, v148
	;;#ASMEND
	v_and_b32_e32 v150, 0xffff0000, v152
	;;#ASMSTART
	v_fmac_f32 v154, v76, v150
	;;#ASMEND
	v_lshlrev_b32_e32 v152, 16, v79
	;;#ASMSTART
	v_fmac_f32 v154, v77, v152
	;;#ASMEND
	v_and_b32_e32 v155, 0x7f800000, v154
	s_delay_alu instid0(VALU_DEP_1) | instskip(SKIP_1) | instid1(SALU_CYCLE_1)
	v_cmp_ne_u32_e32 vcc_lo, 0x7f800000, v155
                                        ; implicit-def: $vgpr155
	s_and_saveexec_b32 s3, vcc_lo
	s_xor_b32 s3, exec_lo, s3
; %bb.30:                               ;   in Loop: Header=BB0_29 Depth=1
	v_bfe_u32 v155, v154, 16, 1
	s_delay_alu instid0(VALU_DEP_1)
	v_add3_u32 v155, v154, v155, 0x7fff
                                        ; implicit-def: $vgpr154
; %bb.31:                               ;   in Loop: Header=BB0_29 Depth=1
	s_and_not1_saveexec_b32 s3, s3
; %bb.32:                               ;   in Loop: Header=BB0_29 Depth=1
	v_and_b32_e32 v155, 0xffff, v154
	v_or_b32_e32 v156, 0x10000, v154
	s_delay_alu instid0(VALU_DEP_2) | instskip(NEXT) | instid1(VALU_DEP_2)
	v_cmp_eq_u32_e32 vcc_lo, 0, v155
	v_cndmask_b32_e32 v155, v156, v154, vcc_lo
; %bb.33:                               ;   in Loop: Header=BB0_29 Depth=1
	s_or_b32 exec_lo, exec_lo, s3
	v_mad_u64_u32 v[156:157], null, v147, s11, v[0:1]
	v_dual_mov_b32 v147, v37 :: v_dual_and_b32 v154, 0xffff0000, v1
	v_and_b32_e32 v136, 0xffff0000, v136
	v_and_b32_e32 v141, 0xffff0000, v141
	v_and_b32_e32 v131, 0xffff0000, v131
	v_and_b32_e32 v127, 0xffff0000, v127
	v_ashrrev_i32_e32 v157, 31, v156
	v_and_b32_e32 v122, 0xffff0000, v122
	v_and_b32_e32 v117, 0xffff0000, v117
	;; [unrolled: 1-line block ×4, first 2 shown]
	v_lshlrev_b64 v[156:157], 1, v[156:157]
	v_and_b32_e32 v103, 0xffff0000, v103
	v_and_b32_e32 v94, 0xffff0000, v94
	;; [unrolled: 1-line block ×5, first 2 shown]
	v_add_co_u32 v0, vcc_lo, s1, v156
	v_add_co_ci_u32_e32 v1, vcc_lo, s2, v157, vcc_lo
	v_and_b32_e32 v79, 0xffff0000, v79
	global_store_d16_hi_b16 v[0:1], v155, off
	;;#ASMSTART
	v_fmac_f32 v147, v38, v81
	;;#ASMEND
	;;#ASMSTART
	v_fmac_f32 v147, v33, v82
	;;#ASMEND
	;; [unrolled: 3-line block ×75, first 2 shown]
	v_and_b32_e32 v79, 0x7f800000, v147
	s_delay_alu instid0(VALU_DEP_1) | instskip(SKIP_1) | instid1(SALU_CYCLE_1)
	v_cmp_ne_u32_e32 vcc_lo, 0x7f800000, v79
                                        ; implicit-def: $vgpr79
	s_and_saveexec_b32 s3, vcc_lo
	s_xor_b32 s3, exec_lo, s3
; %bb.34:                               ;   in Loop: Header=BB0_29 Depth=1
	v_bfe_u32 v79, v147, 16, 1
	s_delay_alu instid0(VALU_DEP_1)
	v_add3_u32 v79, v147, v79, 0x7fff
                                        ; implicit-def: $vgpr147
; %bb.35:                               ;   in Loop: Header=BB0_29 Depth=1
	s_and_not1_saveexec_b32 s3, s3
	s_cbranch_execz .LBB0_28
; %bb.36:                               ;   in Loop: Header=BB0_29 Depth=1
	v_and_b32_e32 v79, 0xffff, v147
	v_or_b32_e32 v80, 0x10000, v147
	s_delay_alu instid0(VALU_DEP_2) | instskip(NEXT) | instid1(VALU_DEP_2)
	v_cmp_eq_u32_e32 vcc_lo, 0, v79
	v_cndmask_b32_e32 v79, v80, v147, vcc_lo
	s_branch .LBB0_28
.LBB0_37:
	s_nop 0
	s_sendmsg sendmsg(MSG_DEALLOC_VGPRS)
	s_endpgm
	.section	.rodata,"a",@progbits
	.p2align	6, 0x0
	.amdhsa_kernel miopen_conv3d_depthwise_fwd
		.amdhsa_group_segment_fixed_size 32576
		.amdhsa_private_segment_fixed_size 0
		.amdhsa_kernarg_size 320
		.amdhsa_user_sgpr_count 13
		.amdhsa_user_sgpr_dispatch_ptr 0
		.amdhsa_user_sgpr_queue_ptr 0
		.amdhsa_user_sgpr_kernarg_segment_ptr 1
		.amdhsa_user_sgpr_dispatch_id 0
		.amdhsa_user_sgpr_private_segment_size 0
		.amdhsa_wavefront_size32 1
		.amdhsa_uses_dynamic_stack 0
		.amdhsa_enable_private_segment 0
		.amdhsa_system_sgpr_workgroup_id_x 1
		.amdhsa_system_sgpr_workgroup_id_y 1
		.amdhsa_system_sgpr_workgroup_id_z 1
		.amdhsa_system_sgpr_workgroup_info 0
		.amdhsa_system_vgpr_workitem_id 0
		.amdhsa_next_free_vgpr 158
		.amdhsa_next_free_sgpr 30
		.amdhsa_reserve_vcc 1
		.amdhsa_float_round_mode_32 0
		.amdhsa_float_round_mode_16_64 0
		.amdhsa_float_denorm_mode_32 3
		.amdhsa_float_denorm_mode_16_64 3
		.amdhsa_dx10_clamp 1
		.amdhsa_ieee_mode 1
		.amdhsa_fp16_overflow 0
		.amdhsa_workgroup_processor_mode 1
		.amdhsa_memory_ordered 1
		.amdhsa_forward_progress 0
		.amdhsa_shared_vgpr_count 0
		.amdhsa_exception_fp_ieee_invalid_op 0
		.amdhsa_exception_fp_denorm_src 0
		.amdhsa_exception_fp_ieee_div_zero 0
		.amdhsa_exception_fp_ieee_overflow 0
		.amdhsa_exception_fp_ieee_underflow 0
		.amdhsa_exception_fp_ieee_inexact 0
		.amdhsa_exception_int_div_zero 0
	.end_amdhsa_kernel
	.text
.Lfunc_end0:
	.size	miopen_conv3d_depthwise_fwd, .Lfunc_end0-miopen_conv3d_depthwise_fwd
                                        ; -- End function
	.section	.AMDGPU.csdata,"",@progbits
; Kernel info:
; codeLenInByte = 7188
; NumSgprs: 32
; NumVgprs: 158
; ScratchSize: 0
; MemoryBound: 0
; FloatMode: 240
; IeeeMode: 1
; LDSByteSize: 32576 bytes/workgroup (compile time only)
; SGPRBlocks: 3
; VGPRBlocks: 19
; NumSGPRsForWavesPerEU: 32
; NumVGPRsForWavesPerEU: 158
; Occupancy: 8
; WaveLimiterHint : 0
; COMPUTE_PGM_RSRC2:SCRATCH_EN: 0
; COMPUTE_PGM_RSRC2:USER_SGPR: 13
; COMPUTE_PGM_RSRC2:TRAP_HANDLER: 0
; COMPUTE_PGM_RSRC2:TGID_X_EN: 1
; COMPUTE_PGM_RSRC2:TGID_Y_EN: 1
; COMPUTE_PGM_RSRC2:TGID_Z_EN: 1
; COMPUTE_PGM_RSRC2:TIDIG_COMP_CNT: 0
	.text
	.p2alignl 7, 3214868480
	.fill 96, 4, 3214868480
	.type	__hip_cuid_3110648270d929ce,@object ; @__hip_cuid_3110648270d929ce
	.section	.bss,"aw",@nobits
	.globl	__hip_cuid_3110648270d929ce
__hip_cuid_3110648270d929ce:
	.byte	0                               ; 0x0
	.size	__hip_cuid_3110648270d929ce, 1

	.ident	"AMD clang version 19.0.0git (https://github.com/RadeonOpenCompute/llvm-project roc-6.4.0 25133 c7fe45cf4b819c5991fe208aaa96edf142730f1d)"
	.section	".note.GNU-stack","",@progbits
	.addrsig
	.addrsig_sym __hip_cuid_3110648270d929ce
	.amdgpu_metadata
---
amdhsa.kernels:
  - .args:
      - .address_space:  global
        .offset:         0
        .size:           8
        .value_kind:     global_buffer
      - .actual_access:  write_only
        .address_space:  global
        .offset:         8
        .size:           8
        .value_kind:     global_buffer
      - .actual_access:  read_only
        .address_space:  global
        .offset:         16
        .size:           8
        .value_kind:     global_buffer
      - .actual_access:  read_only
        .address_space:  global
        .offset:         24
        .size:           8
        .value_kind:     global_buffer
      - .offset:         32
        .size:           4
        .value_kind:     by_value
      - .offset:         36
        .size:           4
        .value_kind:     by_value
      - .offset:         40
        .size:           4
        .value_kind:     by_value
      - .offset:         44
        .size:           4
        .value_kind:     by_value
      - .offset:         48
        .size:           4
        .value_kind:     by_value
      - .offset:         52
        .size:           4
        .value_kind:     by_value
      - .offset:         56
        .size:           4
        .value_kind:     by_value
      - .offset:         60
        .size:           4
        .value_kind:     by_value
      - .offset:         64
        .size:           4
        .value_kind:     hidden_block_count_x
      - .offset:         68
        .size:           4
        .value_kind:     hidden_block_count_y
      - .offset:         72
        .size:           4
        .value_kind:     hidden_block_count_z
      - .offset:         76
        .size:           2
        .value_kind:     hidden_group_size_x
      - .offset:         78
        .size:           2
        .value_kind:     hidden_group_size_y
      - .offset:         80
        .size:           2
        .value_kind:     hidden_group_size_z
      - .offset:         82
        .size:           2
        .value_kind:     hidden_remainder_x
      - .offset:         84
        .size:           2
        .value_kind:     hidden_remainder_y
      - .offset:         86
        .size:           2
        .value_kind:     hidden_remainder_z
      - .offset:         104
        .size:           8
        .value_kind:     hidden_global_offset_x
      - .offset:         112
        .size:           8
        .value_kind:     hidden_global_offset_y
      - .offset:         120
        .size:           8
        .value_kind:     hidden_global_offset_z
      - .offset:         128
        .size:           2
        .value_kind:     hidden_grid_dims
    .group_segment_fixed_size: 32576
    .kernarg_segment_align: 8
    .kernarg_segment_size: 320
    .language:       OpenCL C
    .language_version:
      - 2
      - 0
    .max_flat_workgroup_size: 256
    .name:           miopen_conv3d_depthwise_fwd
    .private_segment_fixed_size: 0
    .sgpr_count:     32
    .sgpr_spill_count: 0
    .symbol:         miopen_conv3d_depthwise_fwd.kd
    .uniform_work_group_size: 1
    .uses_dynamic_stack: false
    .vgpr_count:     158
    .vgpr_spill_count: 0
    .wavefront_size: 32
    .workgroup_processor_mode: 1
amdhsa.target:   amdgcn-amd-amdhsa--gfx1100
amdhsa.version:
  - 1
  - 2
...

	.end_amdgpu_metadata
